;; amdgpu-corpus repo=ggml-org/llama.cpp kind=compiled arch=gfx1250 opt=O3
	.amdgcn_target "amdgcn-amd-amdhsa--gfx1250"
	.amdhsa_code_object_version 6
	.section	.text._ZL23conv2d_transpose_kernelI6__halfEvPKfPKT_Pfiiiiiiiiii,"axG",@progbits,_ZL23conv2d_transpose_kernelI6__halfEvPKfPKT_Pfiiiiiiiiii,comdat
	.globl	_ZL23conv2d_transpose_kernelI6__halfEvPKfPKT_Pfiiiiiiiiii ; -- Begin function _ZL23conv2d_transpose_kernelI6__halfEvPKfPKT_Pfiiiiiiiiii
	.p2align	8
	.type	_ZL23conv2d_transpose_kernelI6__halfEvPKfPKT_Pfiiiiiiiiii,@function
_ZL23conv2d_transpose_kernelI6__halfEvPKfPKT_Pfiiiiiiiiii: ; @_ZL23conv2d_transpose_kernelI6__halfEvPKfPKT_Pfiiiiiiiiii
; %bb.0:
	s_clause 0x2
	s_load_b32 s2, s[0:1], 0x4c
	s_load_b256 s[4:11], s[0:1], 0x18
	s_load_b64 s[16:17], s[0:1], 0x38
	s_bfe_u32 s3, ttmp6, 0x4000c
	s_and_b32 s12, ttmp6, 15
	s_add_co_i32 s3, s3, 1
	s_getreg_b32 s13, hwreg(HW_REG_IB_STS2, 6, 4)
	s_mul_i32 s3, ttmp9, s3
	s_delay_alu instid0(SALU_CYCLE_1)
	s_add_co_i32 s12, s12, s3
	s_wait_kmcnt 0x0
	s_and_b32 s2, s2, 0xffff
	s_cmp_eq_u32 s13, 0
	s_mul_i32 s18, s7, s6
	s_cselect_b32 s3, ttmp9, s12
	s_mul_i32 s19, s16, s18
	v_mad_u32 v0, s3, s2, v0
	s_mul_i32 s2, s19, s17
	s_delay_alu instid0(VALU_DEP_1) | instid1(SALU_CYCLE_1)
	v_cmp_gt_i32_e32 vcc_lo, s2, v0
	s_and_saveexec_b32 s2, vcc_lo
	s_cbranch_execz .LBB0_18
; %bb.1:
	s_abs_i32 s3, s6
	s_abs_i32 s12, s18
	s_cvt_f32_u32 s2, s3
	s_cvt_f32_u32 s13, s12
	s_sub_co_i32 s15, 0, s3
	s_sub_co_i32 s17, 0, s12
	v_rcp_iflag_f32_e32 v1, s2
	v_rcp_iflag_f32_e32 v2, s13
	s_abs_i32 s7, s7
	s_ashr_i32 s14, s6, 31
	s_sub_co_i32 s20, 0, s7
	s_delay_alu instid0(TRANS32_DEP_2) | instskip(NEXT) | instid1(TRANS32_DEP_1)
	v_readfirstlane_b32 s2, v1
	v_readfirstlane_b32 s13, v2
	v_dual_ashrrev_i32 v1, 31, v0 :: v_dual_sub_nc_u32 v2, 0, v0
	s_mul_f32 s2, s2, 0x4f7ffffe
	s_mul_f32 s13, s13, 0x4f7ffffe
	s_delay_alu instid0(VALU_DEP_1) | instskip(NEXT) | instid1(SALU_CYCLE_1)
	v_max_i32_e32 v2, v0, v2
	s_cvt_u32_f32 s2, s2
	s_delay_alu instid0(SALU_CYCLE_1) | instskip(SKIP_1) | instid1(SALU_CYCLE_1)
	s_cvt_u32_f32 s13, s13
	v_xor_b32_e32 v10, s14, v1
	s_mul_i32 s15, s15, s2
	s_delay_alu instid0(SALU_CYCLE_1) | instskip(SKIP_1) | instid1(SALU_CYCLE_1)
	s_mul_i32 s17, s17, s13
	s_mul_hi_u32 s15, s2, s15
	s_add_co_i32 s2, s2, s15
	s_mul_hi_u32 s15, s13, s17
	v_mul_hi_u32 v3, v2, s2
	s_cvt_f32_u32 s17, s7
	s_add_co_i32 s13, s13, s15
	s_abs_i32 s15, s19
	s_ashr_i32 s2, s18, 31
	v_rcp_iflag_f32_e32 v6, s17
	s_cvt_f32_u32 s22, s15
	s_delay_alu instid0(SALU_CYCLE_3) | instskip(NEXT) | instid1(VALU_DEP_1)
	v_rcp_iflag_f32_e32 v9, s22
	v_mul_lo_u32 v5, v3, s3
	s_delay_alu instid0(TRANS32_DEP_2)
	v_readfirstlane_b32 s14, v6
	v_add_nc_u32_e32 v6, 1, v3
	v_mul_hi_u32 v4, v2, s13
	s_abs_i32 s13, s16
	v_xor_b32_e32 v11, s2, v1
	s_cvt_f32_u32 s21, s13
	v_readfirstlane_b32 s23, v9
	s_mul_f32 s14, s14, 0x4f7ffffe
	s_sub_co_i32 s17, 0, s13
	v_rcp_iflag_f32_e32 v7, s21
	v_sub_nc_u32_e32 v5, v2, v5
	s_sub_co_i32 s21, 0, s15
	v_mul_lo_u32 v8, v4, s12
	s_delay_alu instid0(VALU_DEP_2) | instskip(NEXT) | instid1(TRANS32_DEP_1)
	v_cmp_le_u32_e32 vcc_lo, s3, v5
	v_readfirstlane_b32 s22, v7
	v_cndmask_b32_e32 v3, v3, v6, vcc_lo
	v_subrev_nc_u32_e32 v6, s3, v5
	v_sub_nc_u32_e32 v7, v2, v8
	s_delay_alu instid0(VALU_DEP_2) | instskip(NEXT) | instid1(VALU_DEP_2)
	v_dual_cndmask_b32 v5, v5, v6 :: v_dual_add_nc_u32 v8, 1, v4
	v_cmp_le_u32_e64 s2, s12, v7
	v_subrev_nc_u32_e32 v9, s12, v7
	v_add_nc_u32_e32 v6, 1, v3
	s_delay_alu instid0(VALU_DEP_4) | instskip(SKIP_1) | instid1(VALU_DEP_3)
	v_cmp_le_u32_e32 vcc_lo, s3, v5
	s_mul_f32 s3, s23, 0x4f7ffffe
	v_dual_cndmask_b32 v4, v4, v8, s2 :: v_dual_cndmask_b32 v7, v7, v9, s2
	s_mul_f32 s2, s22, 0x4f7ffffe
	s_delay_alu instid0(SALU_CYCLE_1) | instskip(NEXT) | instid1(VALU_DEP_1)
	s_cvt_u32_f32 s3, s3
	v_dual_cndmask_b32 v3, v3, v6 :: v_dual_add_nc_u32 v8, 1, v4
	s_delay_alu instid0(VALU_DEP_2)
	v_cmp_le_u32_e32 vcc_lo, s12, v7
	s_cvt_u32_f32 s12, s14
	s_cvt_u32_f32 s2, s2
	s_mul_i32 s21, s21, s3
	v_dual_cndmask_b32 v4, v4, v8, vcc_lo :: v_dual_bitop2_b32 v3, v3, v10 bitop3:0x14
	s_mul_i32 s20, s20, s12
	s_mul_i32 s17, s17, s2
	s_mul_hi_u32 s14, s12, s20
	s_mul_hi_u32 s20, s3, s21
	s_add_co_i32 s12, s12, s14
	v_dual_sub_nc_u32 v3, v3, v10 :: v_dual_bitop2_b32 v4, v4, v11 bitop3:0x14
	s_add_co_i32 s3, s3, s20
	s_mul_hi_u32 s17, s2, s17
	v_mul_hi_u32 v7, v2, s3
	s_add_co_i32 s2, s2, s17
	v_sub_nc_u32_e32 v5, 0, v3
	s_delay_alu instid0(VALU_DEP_1) | instskip(NEXT) | instid1(VALU_DEP_1)
	v_dual_sub_nc_u32 v4, v4, v11 :: v_dual_max_i32 v5, v3, v5
	v_sub_nc_u32_e32 v6, 0, v4
	s_delay_alu instid0(VALU_DEP_4) | instskip(NEXT) | instid1(VALU_DEP_3)
	v_mul_lo_u32 v10, v7, s15
	v_mul_hi_u32 v8, v5, s12
	s_delay_alu instid0(VALU_DEP_3) | instskip(SKIP_3) | instid1(VALU_DEP_3)
	v_max_i32_e32 v6, v4, v6
	s_ashr_i32 s12, s19, 31
	s_cmp_lt_i32 s11, 1
	v_ashrrev_i32_e32 v4, 31, v4
	v_mul_lo_u32 v8, v8, s7
	v_dual_sub_nc_u32 v2, v2, v10 :: v_dual_add_nc_u32 v10, 1, v7
	v_mul_hi_u32 v9, v6, s2
	s_load_b64 s[2:3], s[0:1], 0x10
	s_delay_alu instid0(VALU_DEP_3) | instskip(NEXT) | instid1(VALU_DEP_3)
	v_sub_nc_u32_e32 v5, v5, v8
	v_cmp_le_u32_e32 vcc_lo, s15, v2
	v_subrev_nc_u32_e32 v8, s15, v2
	s_delay_alu instid0(VALU_DEP_4) | instskip(SKIP_1) | instid1(VALU_DEP_3)
	v_mul_lo_u32 v9, v9, s13
	v_dual_cndmask_b32 v7, v7, v10, vcc_lo :: v_dual_bitop2_b32 v1, s12, v1 bitop3:0x14
	v_cndmask_b32_e32 v2, v2, v8, vcc_lo
	v_cmp_le_u32_e32 vcc_lo, s7, v5
	s_delay_alu instid0(VALU_DEP_3) | instskip(SKIP_1) | instid1(VALU_DEP_2)
	v_dual_add_nc_u32 v8, 1, v7 :: v_dual_sub_nc_u32 v6, v6, v9
	v_subrev_nc_u32_e32 v9, s7, v5
	v_subrev_nc_u32_e32 v10, s13, v6
	s_delay_alu instid0(VALU_DEP_2) | instskip(SKIP_2) | instid1(VALU_DEP_4)
	v_cndmask_b32_e32 v5, v5, v9, vcc_lo
	v_cmp_le_u32_e32 vcc_lo, s13, v6
	v_mul_lo_u32 v9, v3, s6
	v_cndmask_b32_e32 v6, v6, v10, vcc_lo
	s_delay_alu instid0(VALU_DEP_4) | instskip(SKIP_2) | instid1(VALU_DEP_4)
	v_subrev_nc_u32_e32 v10, s7, v5
	v_cmp_le_u32_e32 vcc_lo, s7, v5
	v_ashrrev_i32_e32 v3, 31, v3
	v_subrev_nc_u32_e32 v11, s13, v6
	s_delay_alu instid0(VALU_DEP_4) | instskip(SKIP_1) | instid1(VALU_DEP_2)
	v_cndmask_b32_e32 v5, v5, v10, vcc_lo
	v_cmp_le_u32_e32 vcc_lo, s13, v6
	v_xor_b32_e32 v5, v5, v3
	s_delay_alu instid0(VALU_DEP_4) | instskip(SKIP_2) | instid1(VALU_DEP_1)
	v_cndmask_b32_e32 v6, v6, v11, vcc_lo
	v_cmp_le_u32_e32 vcc_lo, s15, v2
	v_cndmask_b32_e32 v2, v7, v8, vcc_lo
	v_xor_b32_e32 v7, v2, v1
	s_delay_alu instid0(VALU_DEP_4) | instskip(NEXT) | instid1(VALU_DEP_2)
	v_dual_sub_nc_u32 v2, v0, v9 :: v_dual_bitop2_b32 v6, v6, v4 bitop3:0x14
	v_dual_sub_nc_u32 v3, v5, v3 :: v_dual_sub_nc_u32 v5, v7, v1
	s_delay_alu instid0(VALU_DEP_2)
	v_sub_nc_u32_e32 v4, v6, v4
	s_cbranch_scc1 .LBB0_16
; %bb.2:
	s_cmp_gt_i32 s9, 0
	s_delay_alu instid0(VALU_DEP_2)
	v_mul_lo_u32 v6, v5, s11
	s_cselect_b32 s7, -1, 0
	s_cmp_lt_i32 s8, 1
	v_dual_mov_b32 v1, 0 :: v_dual_mov_b32 v7, 0
	s_cselect_b32 s22, -1, 0
	s_abs_i32 s20, s10
	s_mov_b32 s17, 0
	s_cvt_f32_u32 s12, s20
	s_ashr_i32 s21, s10, 31
	s_xor_b32 s22, s22, -1
	s_mov_b32 s23, s17
	v_rcp_iflag_f32_e32 v0, s12
	s_load_b128 s[12:15], s[0:1], 0x0
	s_wait_xcnt 0x0
	s_mul_i32 s1, s9, s8
	s_delay_alu instid0(SALU_CYCLE_1) | instskip(SKIP_4) | instid1(SALU_CYCLE_3)
	v_mul_lo_u32 v8, s1, v4
	s_mul_i32 s1, s1, s16
	s_sub_co_i32 s16, 0, s20
	v_readfirstlane_b32 s0, v0
	s_mul_f32 s0, s0, 0x4f7ffffe
	s_cvt_u32_f32 s0, s0
	s_delay_alu instid0(SALU_CYCLE_3) | instskip(NEXT) | instid1(SALU_CYCLE_1)
	s_mul_i32 s16, s16, s0
	s_mul_hi_u32 s16, s0, s16
	s_delay_alu instid0(SALU_CYCLE_1)
	s_add_co_i32 s16, s0, s16
	s_branch .LBB0_4
.LBB0_3:                                ;   in Loop: Header=BB0_4 Depth=1
	v_add_nc_u32_e32 v8, s1, v8
	s_add_co_i32 s23, s23, 1
	s_delay_alu instid0(SALU_CYCLE_1)
	s_cmp_eq_u32 s23, s11
	s_cbranch_scc1 .LBB0_17
.LBB0_4:                                ; =>This Loop Header: Depth=1
                                        ;     Child Loop BB0_8 Depth 2
                                        ;       Child Loop BB0_13 Depth 3
	s_and_not1_b32 vcc_lo, exec_lo, s7
	s_cbranch_vccnz .LBB0_3
; %bb.5:                                ;   in Loop: Header=BB0_4 Depth=1
	v_dual_add_nc_u32 v0, s23, v6 :: v_dual_mov_b32 v10, v8
	s_mov_b32 s24, 0
	s_delay_alu instid0(VALU_DEP_1)
	v_mul_lo_u32 v9, v0, s5
	s_branch .LBB0_8
.LBB0_6:                                ;   in Loop: Header=BB0_8 Depth=2
	s_or_b32 exec_lo, exec_lo, s26
.LBB0_7:                                ;   in Loop: Header=BB0_8 Depth=2
	s_delay_alu instid0(SALU_CYCLE_1) | instskip(SKIP_2) | instid1(SALU_CYCLE_1)
	s_or_b32 exec_lo, exec_lo, s25
	v_add_nc_u32_e32 v10, s8, v10
	s_add_co_i32 s24, s24, 1
	s_cmp_eq_u32 s24, s9
	s_cbranch_scc1 .LBB0_3
.LBB0_8:                                ;   Parent Loop BB0_4 Depth=1
                                        ; =>  This Loop Header: Depth=2
                                        ;       Child Loop BB0_13 Depth 3
	v_subrev_nc_u32_e32 v11, s24, v3
	s_mov_b32 s25, exec_lo
	s_delay_alu instid0(VALU_DEP_1)
	v_cmpx_lt_i32_e32 -1, v11
	s_cbranch_execz .LBB0_7
; %bb.9:                                ;   in Loop: Header=BB0_8 Depth=2
	v_sub_nc_u32_e32 v0, 0, v11
	s_delay_alu instid0(VALU_DEP_1) | instskip(NEXT) | instid1(VALU_DEP_1)
	v_max_i32_e32 v0, v11, v0
	v_mul_u64_e32 v[12:13], s[16:17], v[0:1]
	s_delay_alu instid0(VALU_DEP_1) | instskip(NEXT) | instid1(VALU_DEP_1)
	v_mul_lo_u32 v12, v13, s20
	v_dual_sub_nc_u32 v0, v0, v12 :: v_dual_add_nc_u32 v12, 1, v13
	s_delay_alu instid0(VALU_DEP_1) | instskip(NEXT) | instid1(VALU_DEP_2)
	v_cmp_le_u32_e32 vcc_lo, s20, v0
	v_cndmask_b32_e32 v12, v13, v12, vcc_lo
	v_subrev_nc_u32_e32 v14, s20, v0
	s_delay_alu instid0(VALU_DEP_1) | instskip(NEXT) | instid1(VALU_DEP_3)
	v_dual_cndmask_b32 v0, v0, v14 :: v_dual_ashrrev_i32 v13, 31, v11
	v_add_nc_u32_e32 v14, 1, v12
	s_delay_alu instid0(VALU_DEP_2) | instskip(NEXT) | instid1(VALU_DEP_2)
	v_cmp_le_u32_e32 vcc_lo, s20, v0
	v_dual_cndmask_b32 v0, v12, v14, vcc_lo :: v_dual_bitop2_b32 v13, s21, v13 bitop3:0x14
	s_delay_alu instid0(VALU_DEP_1) | instskip(NEXT) | instid1(VALU_DEP_1)
	v_xor_b32_e32 v0, v0, v13
	v_sub_nc_u32_e32 v0, v0, v13
	s_delay_alu instid0(VALU_DEP_1) | instskip(SKIP_2) | instid1(VALU_DEP_2)
	v_mul_lo_u32 v12, v0, s10
	v_cmp_gt_i32_e32 vcc_lo, s5, v0
	s_and_b32 s26, vcc_lo, s22
	v_sub_nc_u32_e32 v11, v11, v12
	s_delay_alu instid0(VALU_DEP_1) | instskip(SKIP_1) | instid1(SALU_CYCLE_1)
	v_cmp_eq_u32_e64 s0, 0, v11
	s_and_b32 s0, s0, s26
	s_and_saveexec_b32 s26, s0
	s_cbranch_execz .LBB0_6
; %bb.10:                               ;   in Loop: Header=BB0_8 Depth=2
	v_dual_add_nc_u32 v0, v0, v9 :: v_dual_mov_b32 v12, v10
	v_mov_b32_e32 v13, v2
	s_mov_b32 s27, s8
	s_delay_alu instid0(VALU_DEP_2)
	v_mul_lo_u32 v11, v0, s4
	s_branch .LBB0_13
.LBB0_11:                               ;   in Loop: Header=BB0_13 Depth=3
	s_or_b32 exec_lo, exec_lo, s0
.LBB0_12:                               ;   in Loop: Header=BB0_13 Depth=3
	s_delay_alu instid0(SALU_CYCLE_1) | instskip(SKIP_2) | instid1(SALU_CYCLE_1)
	s_or_b32 exec_lo, exec_lo, s28
	v_dual_add_nc_u32 v13, -1, v13 :: v_dual_add_nc_u32 v12, 1, v12
	s_add_co_i32 s27, s27, -1
	s_cmp_lg_u32 s27, 0
	s_cbranch_scc0 .LBB0_6
.LBB0_13:                               ;   Parent Loop BB0_4 Depth=1
                                        ;     Parent Loop BB0_8 Depth=2
                                        ; =>    This Inner Loop Header: Depth=3
	s_mov_b32 s28, exec_lo
	v_cmpx_lt_i32_e32 -1, v13
	s_cbranch_execz .LBB0_12
; %bb.14:                               ;   in Loop: Header=BB0_13 Depth=3
	v_sub_nc_u32_e32 v0, 0, v13
	s_delay_alu instid0(VALU_DEP_1) | instskip(NEXT) | instid1(VALU_DEP_1)
	v_max_i32_e32 v0, v13, v0
	v_mul_u64_e32 v[14:15], s[16:17], v[0:1]
	s_delay_alu instid0(VALU_DEP_1) | instskip(NEXT) | instid1(VALU_DEP_1)
	v_mul_lo_u32 v14, v15, s20
	v_dual_sub_nc_u32 v0, v0, v14 :: v_dual_add_nc_u32 v14, 1, v15
	s_delay_alu instid0(VALU_DEP_1) | instskip(NEXT) | instid1(VALU_DEP_2)
	v_cmp_le_u32_e32 vcc_lo, s20, v0
	v_dual_cndmask_b32 v14, v15, v14 :: v_dual_ashrrev_i32 v15, 31, v13
	v_subrev_nc_u32_e32 v16, s20, v0
	s_delay_alu instid0(VALU_DEP_1) | instskip(NEXT) | instid1(VALU_DEP_1)
	v_dual_cndmask_b32 v0, v0, v16, vcc_lo :: v_dual_add_nc_u32 v16, 1, v14
	v_cmp_le_u32_e32 vcc_lo, s20, v0
	s_delay_alu instid0(VALU_DEP_2) | instskip(NEXT) | instid1(VALU_DEP_1)
	v_dual_cndmask_b32 v0, v14, v16, vcc_lo :: v_dual_bitop2_b32 v15, s21, v15 bitop3:0x14
	v_xor_b32_e32 v0, v0, v15
	s_delay_alu instid0(VALU_DEP_1) | instskip(NEXT) | instid1(VALU_DEP_1)
	v_sub_nc_u32_e32 v0, v0, v15
	v_mul_lo_u32 v14, v0, s10
	v_cmp_gt_i32_e64 s0, s4, v0
	s_delay_alu instid0(VALU_DEP_2) | instskip(NEXT) | instid1(VALU_DEP_1)
	v_sub_nc_u32_e32 v14, v13, v14
	v_cmp_eq_u32_e32 vcc_lo, 0, v14
	s_and_b32 s29, vcc_lo, s0
	s_delay_alu instid0(SALU_CYCLE_1)
	s_and_saveexec_b32 s0, s29
	s_cbranch_execz .LBB0_11
; %bb.15:                               ;   in Loop: Header=BB0_13 Depth=3
	v_add_nc_u32_e32 v0, v11, v0
	s_wait_kmcnt 0x0
	global_load_b32 v14, v0, s[12:13] scale_offset
	global_load_u16 v15, v12, s[14:15] scale_offset
	s_wait_loadcnt 0x0
	v_fma_mix_f32 v7, v14, v15, v7 op_sel_hi:[0,1,0]
	s_branch .LBB0_11
.LBB0_16:
	v_mov_b32_e32 v7, 0
.LBB0_17:
	s_delay_alu instid0(VALU_DEP_3) | instskip(NEXT) | instid1(VALU_DEP_1)
	v_mad_u32 v0, v3, s6, v2
	v_mad_u32 v0, v4, s18, v0
	s_delay_alu instid0(VALU_DEP_1)
	v_mad_u32 v0, v5, s19, v0
	s_wait_kmcnt 0x0
	global_store_b32 v0, v7, s[2:3] scale_offset
.LBB0_18:
	s_endpgm
	.section	.rodata,"a",@progbits
	.p2align	6, 0x0
	.amdhsa_kernel _ZL23conv2d_transpose_kernelI6__halfEvPKfPKT_Pfiiiiiiiiii
		.amdhsa_group_segment_fixed_size 0
		.amdhsa_private_segment_fixed_size 0
		.amdhsa_kernarg_size 320
		.amdhsa_user_sgpr_count 2
		.amdhsa_user_sgpr_dispatch_ptr 0
		.amdhsa_user_sgpr_queue_ptr 0
		.amdhsa_user_sgpr_kernarg_segment_ptr 1
		.amdhsa_user_sgpr_dispatch_id 0
		.amdhsa_user_sgpr_kernarg_preload_length 0
		.amdhsa_user_sgpr_kernarg_preload_offset 0
		.amdhsa_user_sgpr_private_segment_size 0
		.amdhsa_wavefront_size32 1
		.amdhsa_uses_dynamic_stack 0
		.amdhsa_enable_private_segment 0
		.amdhsa_system_sgpr_workgroup_id_x 1
		.amdhsa_system_sgpr_workgroup_id_y 0
		.amdhsa_system_sgpr_workgroup_id_z 0
		.amdhsa_system_sgpr_workgroup_info 0
		.amdhsa_system_vgpr_workitem_id 0
		.amdhsa_next_free_vgpr 17
		.amdhsa_next_free_sgpr 30
		.amdhsa_named_barrier_count 0
		.amdhsa_reserve_vcc 1
		.amdhsa_float_round_mode_32 0
		.amdhsa_float_round_mode_16_64 0
		.amdhsa_float_denorm_mode_32 3
		.amdhsa_float_denorm_mode_16_64 3
		.amdhsa_fp16_overflow 0
		.amdhsa_memory_ordered 1
		.amdhsa_forward_progress 1
		.amdhsa_inst_pref_size 13
		.amdhsa_round_robin_scheduling 0
		.amdhsa_exception_fp_ieee_invalid_op 0
		.amdhsa_exception_fp_denorm_src 0
		.amdhsa_exception_fp_ieee_div_zero 0
		.amdhsa_exception_fp_ieee_overflow 0
		.amdhsa_exception_fp_ieee_underflow 0
		.amdhsa_exception_fp_ieee_inexact 0
		.amdhsa_exception_int_div_zero 0
	.end_amdhsa_kernel
	.section	.text._ZL23conv2d_transpose_kernelI6__halfEvPKfPKT_Pfiiiiiiiiii,"axG",@progbits,_ZL23conv2d_transpose_kernelI6__halfEvPKfPKT_Pfiiiiiiiiii,comdat
.Lfunc_end0:
	.size	_ZL23conv2d_transpose_kernelI6__halfEvPKfPKT_Pfiiiiiiiiii, .Lfunc_end0-_ZL23conv2d_transpose_kernelI6__halfEvPKfPKT_Pfiiiiiiiiii
                                        ; -- End function
	.set _ZL23conv2d_transpose_kernelI6__halfEvPKfPKT_Pfiiiiiiiiii.num_vgpr, 17
	.set _ZL23conv2d_transpose_kernelI6__halfEvPKfPKT_Pfiiiiiiiiii.num_agpr, 0
	.set _ZL23conv2d_transpose_kernelI6__halfEvPKfPKT_Pfiiiiiiiiii.numbered_sgpr, 30
	.set _ZL23conv2d_transpose_kernelI6__halfEvPKfPKT_Pfiiiiiiiiii.num_named_barrier, 0
	.set _ZL23conv2d_transpose_kernelI6__halfEvPKfPKT_Pfiiiiiiiiii.private_seg_size, 0
	.set _ZL23conv2d_transpose_kernelI6__halfEvPKfPKT_Pfiiiiiiiiii.uses_vcc, 1
	.set _ZL23conv2d_transpose_kernelI6__halfEvPKfPKT_Pfiiiiiiiiii.uses_flat_scratch, 0
	.set _ZL23conv2d_transpose_kernelI6__halfEvPKfPKT_Pfiiiiiiiiii.has_dyn_sized_stack, 0
	.set _ZL23conv2d_transpose_kernelI6__halfEvPKfPKT_Pfiiiiiiiiii.has_recursion, 0
	.set _ZL23conv2d_transpose_kernelI6__halfEvPKfPKT_Pfiiiiiiiiii.has_indirect_call, 0
	.section	.AMDGPU.csdata,"",@progbits
; Kernel info:
; codeLenInByte = 1588
; TotalNumSgprs: 32
; NumVgprs: 17
; ScratchSize: 0
; MemoryBound: 0
; FloatMode: 240
; IeeeMode: 1
; LDSByteSize: 0 bytes/workgroup (compile time only)
; SGPRBlocks: 0
; VGPRBlocks: 1
; NumSGPRsForWavesPerEU: 32
; NumVGPRsForWavesPerEU: 17
; NamedBarCnt: 0
; Occupancy: 16
; WaveLimiterHint : 0
; COMPUTE_PGM_RSRC2:SCRATCH_EN: 0
; COMPUTE_PGM_RSRC2:USER_SGPR: 2
; COMPUTE_PGM_RSRC2:TRAP_HANDLER: 0
; COMPUTE_PGM_RSRC2:TGID_X_EN: 1
; COMPUTE_PGM_RSRC2:TGID_Y_EN: 0
; COMPUTE_PGM_RSRC2:TGID_Z_EN: 0
; COMPUTE_PGM_RSRC2:TIDIG_COMP_CNT: 0
	.section	.text._ZL23conv2d_transpose_kernelIfEvPKfPKT_Pfiiiiiiiiii,"axG",@progbits,_ZL23conv2d_transpose_kernelIfEvPKfPKT_Pfiiiiiiiiii,comdat
	.globl	_ZL23conv2d_transpose_kernelIfEvPKfPKT_Pfiiiiiiiiii ; -- Begin function _ZL23conv2d_transpose_kernelIfEvPKfPKT_Pfiiiiiiiiii
	.p2align	8
	.type	_ZL23conv2d_transpose_kernelIfEvPKfPKT_Pfiiiiiiiiii,@function
_ZL23conv2d_transpose_kernelIfEvPKfPKT_Pfiiiiiiiiii: ; @_ZL23conv2d_transpose_kernelIfEvPKfPKT_Pfiiiiiiiiii
; %bb.0:
	s_clause 0x2
	s_load_b32 s2, s[0:1], 0x4c
	s_load_b256 s[4:11], s[0:1], 0x18
	s_load_b64 s[16:17], s[0:1], 0x38
	s_bfe_u32 s3, ttmp6, 0x4000c
	s_and_b32 s12, ttmp6, 15
	s_add_co_i32 s3, s3, 1
	s_getreg_b32 s13, hwreg(HW_REG_IB_STS2, 6, 4)
	s_mul_i32 s3, ttmp9, s3
	s_delay_alu instid0(SALU_CYCLE_1)
	s_add_co_i32 s12, s12, s3
	s_wait_kmcnt 0x0
	s_and_b32 s2, s2, 0xffff
	s_cmp_eq_u32 s13, 0
	s_mul_i32 s18, s7, s6
	s_cselect_b32 s3, ttmp9, s12
	s_mul_i32 s19, s16, s18
	v_mad_u32 v0, s3, s2, v0
	s_mul_i32 s2, s19, s17
	s_delay_alu instid0(VALU_DEP_1) | instid1(SALU_CYCLE_1)
	v_cmp_gt_i32_e32 vcc_lo, s2, v0
	s_and_saveexec_b32 s2, vcc_lo
	s_cbranch_execz .LBB1_18
; %bb.1:
	s_abs_i32 s3, s6
	s_abs_i32 s12, s18
	s_cvt_f32_u32 s2, s3
	s_cvt_f32_u32 s13, s12
	s_sub_co_i32 s15, 0, s3
	s_sub_co_i32 s17, 0, s12
	v_rcp_iflag_f32_e32 v1, s2
	v_rcp_iflag_f32_e32 v2, s13
	s_abs_i32 s7, s7
	s_ashr_i32 s14, s6, 31
	s_sub_co_i32 s20, 0, s7
	s_delay_alu instid0(TRANS32_DEP_2) | instskip(NEXT) | instid1(TRANS32_DEP_1)
	v_readfirstlane_b32 s2, v1
	v_readfirstlane_b32 s13, v2
	v_dual_ashrrev_i32 v1, 31, v0 :: v_dual_sub_nc_u32 v2, 0, v0
	s_mul_f32 s2, s2, 0x4f7ffffe
	s_mul_f32 s13, s13, 0x4f7ffffe
	s_delay_alu instid0(VALU_DEP_1) | instskip(NEXT) | instid1(SALU_CYCLE_1)
	v_max_i32_e32 v2, v0, v2
	s_cvt_u32_f32 s2, s2
	s_delay_alu instid0(SALU_CYCLE_1) | instskip(SKIP_1) | instid1(SALU_CYCLE_1)
	s_cvt_u32_f32 s13, s13
	v_xor_b32_e32 v10, s14, v1
	s_mul_i32 s15, s15, s2
	s_delay_alu instid0(SALU_CYCLE_1) | instskip(SKIP_1) | instid1(SALU_CYCLE_1)
	s_mul_i32 s17, s17, s13
	s_mul_hi_u32 s15, s2, s15
	s_add_co_i32 s2, s2, s15
	s_mul_hi_u32 s15, s13, s17
	v_mul_hi_u32 v3, v2, s2
	s_cvt_f32_u32 s17, s7
	s_add_co_i32 s13, s13, s15
	s_abs_i32 s15, s19
	s_ashr_i32 s2, s18, 31
	v_rcp_iflag_f32_e32 v6, s17
	s_cvt_f32_u32 s22, s15
	s_delay_alu instid0(SALU_CYCLE_3) | instskip(NEXT) | instid1(VALU_DEP_1)
	v_rcp_iflag_f32_e32 v9, s22
	v_mul_lo_u32 v5, v3, s3
	s_delay_alu instid0(TRANS32_DEP_2)
	v_readfirstlane_b32 s14, v6
	v_add_nc_u32_e32 v6, 1, v3
	v_mul_hi_u32 v4, v2, s13
	s_abs_i32 s13, s16
	v_xor_b32_e32 v11, s2, v1
	s_cvt_f32_u32 s21, s13
	v_readfirstlane_b32 s23, v9
	s_mul_f32 s14, s14, 0x4f7ffffe
	s_sub_co_i32 s17, 0, s13
	v_rcp_iflag_f32_e32 v7, s21
	v_sub_nc_u32_e32 v5, v2, v5
	s_sub_co_i32 s21, 0, s15
	v_mul_lo_u32 v8, v4, s12
	s_delay_alu instid0(VALU_DEP_2) | instskip(NEXT) | instid1(TRANS32_DEP_1)
	v_cmp_le_u32_e32 vcc_lo, s3, v5
	v_readfirstlane_b32 s22, v7
	v_cndmask_b32_e32 v3, v3, v6, vcc_lo
	v_subrev_nc_u32_e32 v6, s3, v5
	v_sub_nc_u32_e32 v7, v2, v8
	s_delay_alu instid0(VALU_DEP_2) | instskip(NEXT) | instid1(VALU_DEP_2)
	v_dual_cndmask_b32 v5, v5, v6 :: v_dual_add_nc_u32 v8, 1, v4
	v_cmp_le_u32_e64 s2, s12, v7
	v_subrev_nc_u32_e32 v9, s12, v7
	v_add_nc_u32_e32 v6, 1, v3
	s_delay_alu instid0(VALU_DEP_4) | instskip(SKIP_1) | instid1(VALU_DEP_3)
	v_cmp_le_u32_e32 vcc_lo, s3, v5
	s_mul_f32 s3, s23, 0x4f7ffffe
	v_dual_cndmask_b32 v4, v4, v8, s2 :: v_dual_cndmask_b32 v7, v7, v9, s2
	s_mul_f32 s2, s22, 0x4f7ffffe
	s_delay_alu instid0(SALU_CYCLE_1) | instskip(NEXT) | instid1(VALU_DEP_1)
	s_cvt_u32_f32 s3, s3
	v_dual_cndmask_b32 v3, v3, v6 :: v_dual_add_nc_u32 v8, 1, v4
	s_delay_alu instid0(VALU_DEP_2)
	v_cmp_le_u32_e32 vcc_lo, s12, v7
	s_cvt_u32_f32 s12, s14
	s_cvt_u32_f32 s2, s2
	s_mul_i32 s21, s21, s3
	v_dual_cndmask_b32 v4, v4, v8, vcc_lo :: v_dual_bitop2_b32 v3, v3, v10 bitop3:0x14
	s_mul_i32 s20, s20, s12
	s_mul_i32 s17, s17, s2
	s_mul_hi_u32 s14, s12, s20
	s_mul_hi_u32 s20, s3, s21
	s_add_co_i32 s12, s12, s14
	v_dual_sub_nc_u32 v3, v3, v10 :: v_dual_bitop2_b32 v4, v4, v11 bitop3:0x14
	s_add_co_i32 s3, s3, s20
	s_mul_hi_u32 s17, s2, s17
	v_mul_hi_u32 v7, v2, s3
	s_add_co_i32 s2, s2, s17
	v_sub_nc_u32_e32 v5, 0, v3
	s_delay_alu instid0(VALU_DEP_1) | instskip(NEXT) | instid1(VALU_DEP_1)
	v_dual_sub_nc_u32 v4, v4, v11 :: v_dual_max_i32 v5, v3, v5
	v_sub_nc_u32_e32 v6, 0, v4
	s_delay_alu instid0(VALU_DEP_4) | instskip(NEXT) | instid1(VALU_DEP_3)
	v_mul_lo_u32 v10, v7, s15
	v_mul_hi_u32 v8, v5, s12
	s_delay_alu instid0(VALU_DEP_3) | instskip(SKIP_3) | instid1(VALU_DEP_3)
	v_max_i32_e32 v6, v4, v6
	s_ashr_i32 s12, s19, 31
	s_cmp_lt_i32 s11, 1
	v_ashrrev_i32_e32 v4, 31, v4
	v_mul_lo_u32 v8, v8, s7
	v_dual_sub_nc_u32 v2, v2, v10 :: v_dual_add_nc_u32 v10, 1, v7
	v_mul_hi_u32 v9, v6, s2
	s_load_b64 s[2:3], s[0:1], 0x10
	s_delay_alu instid0(VALU_DEP_3) | instskip(NEXT) | instid1(VALU_DEP_3)
	v_sub_nc_u32_e32 v5, v5, v8
	v_cmp_le_u32_e32 vcc_lo, s15, v2
	v_subrev_nc_u32_e32 v8, s15, v2
	s_delay_alu instid0(VALU_DEP_4) | instskip(SKIP_1) | instid1(VALU_DEP_3)
	v_mul_lo_u32 v9, v9, s13
	v_dual_cndmask_b32 v7, v7, v10, vcc_lo :: v_dual_bitop2_b32 v1, s12, v1 bitop3:0x14
	v_cndmask_b32_e32 v2, v2, v8, vcc_lo
	v_cmp_le_u32_e32 vcc_lo, s7, v5
	s_delay_alu instid0(VALU_DEP_3) | instskip(SKIP_1) | instid1(VALU_DEP_2)
	v_dual_add_nc_u32 v8, 1, v7 :: v_dual_sub_nc_u32 v6, v6, v9
	v_subrev_nc_u32_e32 v9, s7, v5
	v_subrev_nc_u32_e32 v10, s13, v6
	s_delay_alu instid0(VALU_DEP_2) | instskip(SKIP_2) | instid1(VALU_DEP_4)
	v_cndmask_b32_e32 v5, v5, v9, vcc_lo
	v_cmp_le_u32_e32 vcc_lo, s13, v6
	v_mul_lo_u32 v9, v3, s6
	v_cndmask_b32_e32 v6, v6, v10, vcc_lo
	s_delay_alu instid0(VALU_DEP_4) | instskip(SKIP_2) | instid1(VALU_DEP_4)
	v_subrev_nc_u32_e32 v10, s7, v5
	v_cmp_le_u32_e32 vcc_lo, s7, v5
	v_ashrrev_i32_e32 v3, 31, v3
	v_subrev_nc_u32_e32 v11, s13, v6
	s_delay_alu instid0(VALU_DEP_4) | instskip(SKIP_1) | instid1(VALU_DEP_2)
	v_cndmask_b32_e32 v5, v5, v10, vcc_lo
	v_cmp_le_u32_e32 vcc_lo, s13, v6
	v_xor_b32_e32 v5, v5, v3
	s_delay_alu instid0(VALU_DEP_4) | instskip(SKIP_2) | instid1(VALU_DEP_1)
	v_cndmask_b32_e32 v6, v6, v11, vcc_lo
	v_cmp_le_u32_e32 vcc_lo, s15, v2
	v_cndmask_b32_e32 v2, v7, v8, vcc_lo
	v_xor_b32_e32 v7, v2, v1
	s_delay_alu instid0(VALU_DEP_4) | instskip(NEXT) | instid1(VALU_DEP_2)
	v_dual_sub_nc_u32 v2, v0, v9 :: v_dual_bitop2_b32 v6, v6, v4 bitop3:0x14
	v_dual_sub_nc_u32 v3, v5, v3 :: v_dual_sub_nc_u32 v5, v7, v1
	s_delay_alu instid0(VALU_DEP_2)
	v_sub_nc_u32_e32 v4, v6, v4
	s_cbranch_scc1 .LBB1_16
; %bb.2:
	s_cmp_gt_i32 s9, 0
	s_delay_alu instid0(VALU_DEP_2)
	v_mul_lo_u32 v6, v5, s11
	s_cselect_b32 s7, -1, 0
	s_cmp_lt_i32 s8, 1
	v_dual_mov_b32 v1, 0 :: v_dual_mov_b32 v7, 0
	s_cselect_b32 s22, -1, 0
	s_abs_i32 s20, s10
	s_mov_b32 s17, 0
	s_cvt_f32_u32 s12, s20
	s_ashr_i32 s21, s10, 31
	s_xor_b32 s22, s22, -1
	s_mov_b32 s23, s17
	v_rcp_iflag_f32_e32 v0, s12
	s_load_b128 s[12:15], s[0:1], 0x0
	s_wait_xcnt 0x0
	s_mul_i32 s1, s9, s8
	s_delay_alu instid0(SALU_CYCLE_1) | instskip(SKIP_4) | instid1(SALU_CYCLE_3)
	v_mul_lo_u32 v8, s1, v4
	s_mul_i32 s1, s1, s16
	s_sub_co_i32 s16, 0, s20
	v_readfirstlane_b32 s0, v0
	s_mul_f32 s0, s0, 0x4f7ffffe
	s_cvt_u32_f32 s0, s0
	s_delay_alu instid0(SALU_CYCLE_3) | instskip(NEXT) | instid1(SALU_CYCLE_1)
	s_mul_i32 s16, s16, s0
	s_mul_hi_u32 s16, s0, s16
	s_delay_alu instid0(SALU_CYCLE_1)
	s_add_co_i32 s16, s0, s16
	s_branch .LBB1_4
.LBB1_3:                                ;   in Loop: Header=BB1_4 Depth=1
	v_add_nc_u32_e32 v8, s1, v8
	s_add_co_i32 s23, s23, 1
	s_delay_alu instid0(SALU_CYCLE_1)
	s_cmp_eq_u32 s23, s11
	s_cbranch_scc1 .LBB1_17
.LBB1_4:                                ; =>This Loop Header: Depth=1
                                        ;     Child Loop BB1_8 Depth 2
                                        ;       Child Loop BB1_13 Depth 3
	s_and_not1_b32 vcc_lo, exec_lo, s7
	s_cbranch_vccnz .LBB1_3
; %bb.5:                                ;   in Loop: Header=BB1_4 Depth=1
	v_dual_add_nc_u32 v0, s23, v6 :: v_dual_mov_b32 v10, v8
	s_mov_b32 s24, 0
	s_delay_alu instid0(VALU_DEP_1)
	v_mul_lo_u32 v9, v0, s5
	s_branch .LBB1_8
.LBB1_6:                                ;   in Loop: Header=BB1_8 Depth=2
	s_or_b32 exec_lo, exec_lo, s26
.LBB1_7:                                ;   in Loop: Header=BB1_8 Depth=2
	s_delay_alu instid0(SALU_CYCLE_1) | instskip(SKIP_2) | instid1(SALU_CYCLE_1)
	s_or_b32 exec_lo, exec_lo, s25
	v_add_nc_u32_e32 v10, s8, v10
	s_add_co_i32 s24, s24, 1
	s_cmp_eq_u32 s24, s9
	s_cbranch_scc1 .LBB1_3
.LBB1_8:                                ;   Parent Loop BB1_4 Depth=1
                                        ; =>  This Loop Header: Depth=2
                                        ;       Child Loop BB1_13 Depth 3
	v_subrev_nc_u32_e32 v11, s24, v3
	s_mov_b32 s25, exec_lo
	s_delay_alu instid0(VALU_DEP_1)
	v_cmpx_lt_i32_e32 -1, v11
	s_cbranch_execz .LBB1_7
; %bb.9:                                ;   in Loop: Header=BB1_8 Depth=2
	v_sub_nc_u32_e32 v0, 0, v11
	s_delay_alu instid0(VALU_DEP_1) | instskip(NEXT) | instid1(VALU_DEP_1)
	v_max_i32_e32 v0, v11, v0
	v_mul_u64_e32 v[12:13], s[16:17], v[0:1]
	s_delay_alu instid0(VALU_DEP_1) | instskip(NEXT) | instid1(VALU_DEP_1)
	v_mul_lo_u32 v12, v13, s20
	v_dual_sub_nc_u32 v0, v0, v12 :: v_dual_add_nc_u32 v12, 1, v13
	s_delay_alu instid0(VALU_DEP_1) | instskip(NEXT) | instid1(VALU_DEP_2)
	v_cmp_le_u32_e32 vcc_lo, s20, v0
	v_cndmask_b32_e32 v12, v13, v12, vcc_lo
	v_subrev_nc_u32_e32 v14, s20, v0
	s_delay_alu instid0(VALU_DEP_1) | instskip(NEXT) | instid1(VALU_DEP_3)
	v_dual_cndmask_b32 v0, v0, v14 :: v_dual_ashrrev_i32 v13, 31, v11
	v_add_nc_u32_e32 v14, 1, v12
	s_delay_alu instid0(VALU_DEP_2) | instskip(NEXT) | instid1(VALU_DEP_2)
	v_cmp_le_u32_e32 vcc_lo, s20, v0
	v_dual_cndmask_b32 v0, v12, v14, vcc_lo :: v_dual_bitop2_b32 v13, s21, v13 bitop3:0x14
	s_delay_alu instid0(VALU_DEP_1) | instskip(NEXT) | instid1(VALU_DEP_1)
	v_xor_b32_e32 v0, v0, v13
	v_sub_nc_u32_e32 v0, v0, v13
	s_delay_alu instid0(VALU_DEP_1) | instskip(SKIP_2) | instid1(VALU_DEP_2)
	v_mul_lo_u32 v12, v0, s10
	v_cmp_gt_i32_e32 vcc_lo, s5, v0
	s_and_b32 s26, vcc_lo, s22
	v_sub_nc_u32_e32 v11, v11, v12
	s_delay_alu instid0(VALU_DEP_1) | instskip(SKIP_1) | instid1(SALU_CYCLE_1)
	v_cmp_eq_u32_e64 s0, 0, v11
	s_and_b32 s0, s0, s26
	s_and_saveexec_b32 s26, s0
	s_cbranch_execz .LBB1_6
; %bb.10:                               ;   in Loop: Header=BB1_8 Depth=2
	v_dual_add_nc_u32 v0, v0, v9 :: v_dual_mov_b32 v12, v10
	v_mov_b32_e32 v13, v2
	s_mov_b32 s27, s8
	s_delay_alu instid0(VALU_DEP_2)
	v_mul_lo_u32 v11, v0, s4
	s_branch .LBB1_13
.LBB1_11:                               ;   in Loop: Header=BB1_13 Depth=3
	s_or_b32 exec_lo, exec_lo, s0
.LBB1_12:                               ;   in Loop: Header=BB1_13 Depth=3
	s_delay_alu instid0(SALU_CYCLE_1) | instskip(SKIP_2) | instid1(SALU_CYCLE_1)
	s_or_b32 exec_lo, exec_lo, s28
	v_dual_add_nc_u32 v13, -1, v13 :: v_dual_add_nc_u32 v12, 1, v12
	s_add_co_i32 s27, s27, -1
	s_cmp_lg_u32 s27, 0
	s_cbranch_scc0 .LBB1_6
.LBB1_13:                               ;   Parent Loop BB1_4 Depth=1
                                        ;     Parent Loop BB1_8 Depth=2
                                        ; =>    This Inner Loop Header: Depth=3
	s_mov_b32 s28, exec_lo
	v_cmpx_lt_i32_e32 -1, v13
	s_cbranch_execz .LBB1_12
; %bb.14:                               ;   in Loop: Header=BB1_13 Depth=3
	v_sub_nc_u32_e32 v0, 0, v13
	s_delay_alu instid0(VALU_DEP_1) | instskip(NEXT) | instid1(VALU_DEP_1)
	v_max_i32_e32 v0, v13, v0
	v_mul_u64_e32 v[14:15], s[16:17], v[0:1]
	s_delay_alu instid0(VALU_DEP_1) | instskip(NEXT) | instid1(VALU_DEP_1)
	v_mul_lo_u32 v14, v15, s20
	v_dual_sub_nc_u32 v0, v0, v14 :: v_dual_add_nc_u32 v14, 1, v15
	s_delay_alu instid0(VALU_DEP_1) | instskip(NEXT) | instid1(VALU_DEP_2)
	v_cmp_le_u32_e32 vcc_lo, s20, v0
	v_dual_cndmask_b32 v14, v15, v14 :: v_dual_ashrrev_i32 v15, 31, v13
	v_subrev_nc_u32_e32 v16, s20, v0
	s_delay_alu instid0(VALU_DEP_1) | instskip(NEXT) | instid1(VALU_DEP_1)
	v_dual_cndmask_b32 v0, v0, v16, vcc_lo :: v_dual_add_nc_u32 v16, 1, v14
	v_cmp_le_u32_e32 vcc_lo, s20, v0
	s_delay_alu instid0(VALU_DEP_2) | instskip(NEXT) | instid1(VALU_DEP_1)
	v_dual_cndmask_b32 v0, v14, v16, vcc_lo :: v_dual_bitop2_b32 v15, s21, v15 bitop3:0x14
	v_xor_b32_e32 v0, v0, v15
	s_delay_alu instid0(VALU_DEP_1) | instskip(NEXT) | instid1(VALU_DEP_1)
	v_sub_nc_u32_e32 v0, v0, v15
	v_mul_lo_u32 v14, v0, s10
	v_cmp_gt_i32_e64 s0, s4, v0
	s_delay_alu instid0(VALU_DEP_2) | instskip(NEXT) | instid1(VALU_DEP_1)
	v_sub_nc_u32_e32 v14, v13, v14
	v_cmp_eq_u32_e32 vcc_lo, 0, v14
	s_and_b32 s29, vcc_lo, s0
	s_delay_alu instid0(SALU_CYCLE_1)
	s_and_saveexec_b32 s0, s29
	s_cbranch_execz .LBB1_11
; %bb.15:                               ;   in Loop: Header=BB1_13 Depth=3
	v_add_nc_u32_e32 v0, v11, v0
	s_wait_kmcnt 0x0
	global_load_b32 v14, v0, s[12:13] scale_offset
	global_load_b32 v15, v12, s[14:15] scale_offset
	s_wait_loadcnt 0x0
	v_fmac_f32_e32 v7, v14, v15
	s_branch .LBB1_11
.LBB1_16:
	v_mov_b32_e32 v7, 0
.LBB1_17:
	s_delay_alu instid0(VALU_DEP_3) | instskip(NEXT) | instid1(VALU_DEP_1)
	v_mad_u32 v0, v3, s6, v2
	v_mad_u32 v0, v4, s18, v0
	s_delay_alu instid0(VALU_DEP_1)
	v_mad_u32 v0, v5, s19, v0
	s_wait_kmcnt 0x0
	global_store_b32 v0, v7, s[2:3] scale_offset
.LBB1_18:
	s_endpgm
	.section	.rodata,"a",@progbits
	.p2align	6, 0x0
	.amdhsa_kernel _ZL23conv2d_transpose_kernelIfEvPKfPKT_Pfiiiiiiiiii
		.amdhsa_group_segment_fixed_size 0
		.amdhsa_private_segment_fixed_size 0
		.amdhsa_kernarg_size 320
		.amdhsa_user_sgpr_count 2
		.amdhsa_user_sgpr_dispatch_ptr 0
		.amdhsa_user_sgpr_queue_ptr 0
		.amdhsa_user_sgpr_kernarg_segment_ptr 1
		.amdhsa_user_sgpr_dispatch_id 0
		.amdhsa_user_sgpr_kernarg_preload_length 0
		.amdhsa_user_sgpr_kernarg_preload_offset 0
		.amdhsa_user_sgpr_private_segment_size 0
		.amdhsa_wavefront_size32 1
		.amdhsa_uses_dynamic_stack 0
		.amdhsa_enable_private_segment 0
		.amdhsa_system_sgpr_workgroup_id_x 1
		.amdhsa_system_sgpr_workgroup_id_y 0
		.amdhsa_system_sgpr_workgroup_id_z 0
		.amdhsa_system_sgpr_workgroup_info 0
		.amdhsa_system_vgpr_workitem_id 0
		.amdhsa_next_free_vgpr 17
		.amdhsa_next_free_sgpr 30
		.amdhsa_named_barrier_count 0
		.amdhsa_reserve_vcc 1
		.amdhsa_float_round_mode_32 0
		.amdhsa_float_round_mode_16_64 0
		.amdhsa_float_denorm_mode_32 3
		.amdhsa_float_denorm_mode_16_64 3
		.amdhsa_fp16_overflow 0
		.amdhsa_memory_ordered 1
		.amdhsa_forward_progress 1
		.amdhsa_inst_pref_size 13
		.amdhsa_round_robin_scheduling 0
		.amdhsa_exception_fp_ieee_invalid_op 0
		.amdhsa_exception_fp_denorm_src 0
		.amdhsa_exception_fp_ieee_div_zero 0
		.amdhsa_exception_fp_ieee_overflow 0
		.amdhsa_exception_fp_ieee_underflow 0
		.amdhsa_exception_fp_ieee_inexact 0
		.amdhsa_exception_int_div_zero 0
	.end_amdhsa_kernel
	.section	.text._ZL23conv2d_transpose_kernelIfEvPKfPKT_Pfiiiiiiiiii,"axG",@progbits,_ZL23conv2d_transpose_kernelIfEvPKfPKT_Pfiiiiiiiiii,comdat
.Lfunc_end1:
	.size	_ZL23conv2d_transpose_kernelIfEvPKfPKT_Pfiiiiiiiiii, .Lfunc_end1-_ZL23conv2d_transpose_kernelIfEvPKfPKT_Pfiiiiiiiiii
                                        ; -- End function
	.set _ZL23conv2d_transpose_kernelIfEvPKfPKT_Pfiiiiiiiiii.num_vgpr, 17
	.set _ZL23conv2d_transpose_kernelIfEvPKfPKT_Pfiiiiiiiiii.num_agpr, 0
	.set _ZL23conv2d_transpose_kernelIfEvPKfPKT_Pfiiiiiiiiii.numbered_sgpr, 30
	.set _ZL23conv2d_transpose_kernelIfEvPKfPKT_Pfiiiiiiiiii.num_named_barrier, 0
	.set _ZL23conv2d_transpose_kernelIfEvPKfPKT_Pfiiiiiiiiii.private_seg_size, 0
	.set _ZL23conv2d_transpose_kernelIfEvPKfPKT_Pfiiiiiiiiii.uses_vcc, 1
	.set _ZL23conv2d_transpose_kernelIfEvPKfPKT_Pfiiiiiiiiii.uses_flat_scratch, 0
	.set _ZL23conv2d_transpose_kernelIfEvPKfPKT_Pfiiiiiiiiii.has_dyn_sized_stack, 0
	.set _ZL23conv2d_transpose_kernelIfEvPKfPKT_Pfiiiiiiiiii.has_recursion, 0
	.set _ZL23conv2d_transpose_kernelIfEvPKfPKT_Pfiiiiiiiiii.has_indirect_call, 0
	.section	.AMDGPU.csdata,"",@progbits
; Kernel info:
; codeLenInByte = 1584
; TotalNumSgprs: 32
; NumVgprs: 17
; ScratchSize: 0
; MemoryBound: 0
; FloatMode: 240
; IeeeMode: 1
; LDSByteSize: 0 bytes/workgroup (compile time only)
; SGPRBlocks: 0
; VGPRBlocks: 1
; NumSGPRsForWavesPerEU: 32
; NumVGPRsForWavesPerEU: 17
; NamedBarCnt: 0
; Occupancy: 16
; WaveLimiterHint : 0
; COMPUTE_PGM_RSRC2:SCRATCH_EN: 0
; COMPUTE_PGM_RSRC2:USER_SGPR: 2
; COMPUTE_PGM_RSRC2:TRAP_HANDLER: 0
; COMPUTE_PGM_RSRC2:TGID_X_EN: 1
; COMPUTE_PGM_RSRC2:TGID_Y_EN: 0
; COMPUTE_PGM_RSRC2:TGID_Z_EN: 0
; COMPUTE_PGM_RSRC2:TIDIG_COMP_CNT: 0
	.section	.AMDGPU.gpr_maximums,"",@progbits
	.set amdgpu.max_num_vgpr, 0
	.set amdgpu.max_num_agpr, 0
	.set amdgpu.max_num_sgpr, 0
	.section	.AMDGPU.csdata,"",@progbits
	.type	__hip_cuid_9e6ce5d2b8ad7390,@object ; @__hip_cuid_9e6ce5d2b8ad7390
	.section	.bss,"aw",@nobits
	.globl	__hip_cuid_9e6ce5d2b8ad7390
__hip_cuid_9e6ce5d2b8ad7390:
	.byte	0                               ; 0x0
	.size	__hip_cuid_9e6ce5d2b8ad7390, 1

	.ident	"AMD clang version 22.0.0git (https://github.com/RadeonOpenCompute/llvm-project roc-7.2.4 26084 f58b06dce1f9c15707c5f808fd002e18c2accf7e)"
	.section	".note.GNU-stack","",@progbits
	.addrsig
	.addrsig_sym __hip_cuid_9e6ce5d2b8ad7390
	.amdgpu_metadata
---
amdhsa.kernels:
  - .args:
      - .actual_access:  read_only
        .address_space:  global
        .offset:         0
        .size:           8
        .value_kind:     global_buffer
      - .actual_access:  read_only
        .address_space:  global
        .offset:         8
        .size:           8
        .value_kind:     global_buffer
      - .actual_access:  write_only
        .address_space:  global
        .offset:         16
        .size:           8
        .value_kind:     global_buffer
      - .offset:         24
        .size:           4
        .value_kind:     by_value
      - .offset:         28
        .size:           4
        .value_kind:     by_value
      - .offset:         32
        .size:           4
        .value_kind:     by_value
      - .offset:         36
        .size:           4
        .value_kind:     by_value
      - .offset:         40
        .size:           4
        .value_kind:     by_value
      - .offset:         44
        .size:           4
        .value_kind:     by_value
      - .offset:         48
        .size:           4
        .value_kind:     by_value
      - .offset:         52
        .size:           4
        .value_kind:     by_value
      - .offset:         56
        .size:           4
        .value_kind:     by_value
      - .offset:         60
        .size:           4
        .value_kind:     by_value
      - .offset:         64
        .size:           4
        .value_kind:     hidden_block_count_x
      - .offset:         68
        .size:           4
        .value_kind:     hidden_block_count_y
      - .offset:         72
        .size:           4
        .value_kind:     hidden_block_count_z
      - .offset:         76
        .size:           2
        .value_kind:     hidden_group_size_x
      - .offset:         78
        .size:           2
        .value_kind:     hidden_group_size_y
      - .offset:         80
        .size:           2
        .value_kind:     hidden_group_size_z
      - .offset:         82
        .size:           2
        .value_kind:     hidden_remainder_x
      - .offset:         84
        .size:           2
        .value_kind:     hidden_remainder_y
      - .offset:         86
        .size:           2
        .value_kind:     hidden_remainder_z
      - .offset:         104
        .size:           8
        .value_kind:     hidden_global_offset_x
      - .offset:         112
        .size:           8
        .value_kind:     hidden_global_offset_y
      - .offset:         120
        .size:           8
        .value_kind:     hidden_global_offset_z
      - .offset:         128
        .size:           2
        .value_kind:     hidden_grid_dims
    .group_segment_fixed_size: 0
    .kernarg_segment_align: 8
    .kernarg_segment_size: 320
    .language:       OpenCL C
    .language_version:
      - 2
      - 0
    .max_flat_workgroup_size: 1024
    .name:           _ZL23conv2d_transpose_kernelI6__halfEvPKfPKT_Pfiiiiiiiiii
    .private_segment_fixed_size: 0
    .sgpr_count:     32
    .sgpr_spill_count: 0
    .symbol:         _ZL23conv2d_transpose_kernelI6__halfEvPKfPKT_Pfiiiiiiiiii.kd
    .uniform_work_group_size: 1
    .uses_dynamic_stack: false
    .vgpr_count:     17
    .vgpr_spill_count: 0
    .wavefront_size: 32
  - .args:
      - .actual_access:  read_only
        .address_space:  global
        .offset:         0
        .size:           8
        .value_kind:     global_buffer
      - .actual_access:  read_only
        .address_space:  global
        .offset:         8
        .size:           8
        .value_kind:     global_buffer
      - .actual_access:  write_only
        .address_space:  global
        .offset:         16
        .size:           8
        .value_kind:     global_buffer
      - .offset:         24
        .size:           4
        .value_kind:     by_value
      - .offset:         28
        .size:           4
        .value_kind:     by_value
      - .offset:         32
        .size:           4
        .value_kind:     by_value
      - .offset:         36
        .size:           4
        .value_kind:     by_value
      - .offset:         40
        .size:           4
        .value_kind:     by_value
      - .offset:         44
        .size:           4
        .value_kind:     by_value
      - .offset:         48
        .size:           4
        .value_kind:     by_value
      - .offset:         52
        .size:           4
        .value_kind:     by_value
      - .offset:         56
        .size:           4
        .value_kind:     by_value
      - .offset:         60
        .size:           4
        .value_kind:     by_value
      - .offset:         64
        .size:           4
        .value_kind:     hidden_block_count_x
      - .offset:         68
        .size:           4
        .value_kind:     hidden_block_count_y
      - .offset:         72
        .size:           4
        .value_kind:     hidden_block_count_z
      - .offset:         76
        .size:           2
        .value_kind:     hidden_group_size_x
      - .offset:         78
        .size:           2
        .value_kind:     hidden_group_size_y
      - .offset:         80
        .size:           2
        .value_kind:     hidden_group_size_z
      - .offset:         82
        .size:           2
        .value_kind:     hidden_remainder_x
      - .offset:         84
        .size:           2
        .value_kind:     hidden_remainder_y
      - .offset:         86
        .size:           2
        .value_kind:     hidden_remainder_z
      - .offset:         104
        .size:           8
        .value_kind:     hidden_global_offset_x
      - .offset:         112
        .size:           8
        .value_kind:     hidden_global_offset_y
      - .offset:         120
        .size:           8
        .value_kind:     hidden_global_offset_z
      - .offset:         128
        .size:           2
        .value_kind:     hidden_grid_dims
    .group_segment_fixed_size: 0
    .kernarg_segment_align: 8
    .kernarg_segment_size: 320
    .language:       OpenCL C
    .language_version:
      - 2
      - 0
    .max_flat_workgroup_size: 1024
    .name:           _ZL23conv2d_transpose_kernelIfEvPKfPKT_Pfiiiiiiiiii
    .private_segment_fixed_size: 0
    .sgpr_count:     32
    .sgpr_spill_count: 0
    .symbol:         _ZL23conv2d_transpose_kernelIfEvPKfPKT_Pfiiiiiiiiii.kd
    .uniform_work_group_size: 1
    .uses_dynamic_stack: false
    .vgpr_count:     17
    .vgpr_spill_count: 0
    .wavefront_size: 32
amdhsa.target:   amdgcn-amd-amdhsa--gfx1250
amdhsa.version:
  - 1
  - 2
...

	.end_amdgpu_metadata
